;; amdgpu-corpus repo=ggml-org/llama.cpp kind=compiled arch=gfx906 opt=O3
	.amdgcn_target "amdgcn-amd-amdhsa--gfx906"
	.amdhsa_code_object_version 6
	.section	.text._ZL13roll_f32_cudaPKfPflllliiii,"axG",@progbits,_ZL13roll_f32_cudaPKfPflllliiii,comdat
	.globl	_ZL13roll_f32_cudaPKfPflllliiii ; -- Begin function _ZL13roll_f32_cudaPKfPflllliiii
	.p2align	8
	.type	_ZL13roll_f32_cudaPKfPflllliiii,@function
_ZL13roll_f32_cudaPKfPflllliiii:        ; @_ZL13roll_f32_cudaPKfPflllliiii
; %bb.0:
	s_load_dword s0, s[4:5], 0x4c
	s_load_dwordx8 s[8:15], s[4:5], 0x10
	v_mov_b32_e32 v2, 0
	v_mov_b32_e32 v1, v2
	;; [unrolled: 1-line block ×3, first 2 shown]
	s_waitcnt lgkmcnt(0)
	s_and_b32 s0, s0, 0xffff
	v_mad_u64_u32 v[0:1], s[0:1], s0, v3, v[0:1]
	s_mul_i32 s0, s10, s9
	s_mul_hi_u32 s1, s10, s8
	s_add_i32 s18, s1, s0
	s_mul_i32 s0, s11, s8
	s_mul_i32 s19, s10, s8
	s_add_i32 s18, s18, s0
	s_mul_i32 s0, s19, s13
	s_mul_hi_u32 s1, s19, s12
	s_add_i32 s20, s1, s0
	s_mul_i32 s0, s18, s12
	s_mul_i32 s21, s19, s12
	s_add_i32 s20, s20, s0
	s_mul_i32 s1, s21, s15
	s_mul_hi_u32 s2, s21, s14
	s_mul_i32 s0, s20, s14
	s_add_i32 s1, s2, s1
	s_add_i32 s1, s1, s0
	s_mul_i32 s0, s21, s14
	v_cmp_gt_i64_e32 vcc, s[0:1], v[0:1]
	s_and_saveexec_b64 s[0:1], vcc
	s_cbranch_execz .LBB0_42
; %bb.1:
	v_or_b32_e32 v3, s9, v1
	v_cmp_ne_u64_e32 vcc, 0, v[2:3]
	v_ashrrev_i32_e32 v12, 31, v1
                                        ; implicit-def: $vgpr4_vgpr5
	s_and_saveexec_b64 s[0:1], vcc
	s_xor_b64 s[2:3], exec, s[0:1]
	s_cbranch_execz .LBB0_3
; %bb.2:
	s_ashr_i32 s6, s9, 31
	s_add_u32 s0, s8, s6
	s_mov_b32 s7, s6
	s_addc_u32 s1, s9, s6
	s_xor_b64 s[16:17], s[0:1], s[6:7]
	v_cvt_f32_u32_e32 v2, s16
	v_cvt_f32_u32_e32 v3, s17
	s_sub_u32 s7, 0, s16
	s_subb_u32 s22, 0, s17
	v_madmk_f32 v2, v3, 0x4f800000, v2
	v_rcp_f32_e32 v2, v2
	v_mul_f32_e32 v2, 0x5f7ffffc, v2
	v_mul_f32_e32 v3, 0x2f800000, v2
	v_trunc_f32_e32 v3, v3
	v_madmk_f32 v2, v3, 0xcf800000, v2
	v_cvt_u32_f32_e32 v3, v3
	v_cvt_u32_f32_e32 v2, v2
	v_readfirstlane_b32 s23, v3
	v_readfirstlane_b32 s0, v2
	s_mul_i32 s1, s7, s23
	s_mul_hi_u32 s25, s7, s0
	s_mul_i32 s24, s22, s0
	s_add_i32 s1, s25, s1
	s_add_i32 s1, s1, s24
	s_mul_i32 s26, s7, s0
	s_mul_i32 s25, s0, s1
	s_mul_hi_u32 s27, s0, s26
	s_mul_hi_u32 s24, s0, s1
	s_add_u32 s25, s27, s25
	s_addc_u32 s24, 0, s24
	s_mul_hi_u32 s28, s23, s26
	s_mul_i32 s26, s23, s26
	s_add_u32 s25, s25, s26
	s_mul_hi_u32 s27, s23, s1
	s_addc_u32 s24, s24, s28
	s_addc_u32 s25, s27, 0
	s_mul_i32 s1, s23, s1
	s_add_u32 s1, s24, s1
	s_addc_u32 s24, 0, s25
	s_add_u32 s25, s0, s1
	s_cselect_b64 s[0:1], -1, 0
	s_cmp_lg_u64 s[0:1], 0
	s_addc_u32 s23, s23, s24
	s_mul_i32 s0, s7, s23
	s_mul_hi_u32 s1, s7, s25
	s_add_i32 s0, s1, s0
	s_mul_i32 s22, s22, s25
	s_add_i32 s0, s0, s22
	s_mul_i32 s7, s7, s25
	s_mul_hi_u32 s22, s23, s7
	s_mul_i32 s24, s23, s7
	s_mul_i32 s27, s25, s0
	s_mul_hi_u32 s7, s25, s7
	s_mul_hi_u32 s26, s25, s0
	s_add_u32 s7, s7, s27
	s_addc_u32 s26, 0, s26
	s_add_u32 s7, s7, s24
	s_mul_hi_u32 s1, s23, s0
	s_addc_u32 s7, s26, s22
	s_addc_u32 s1, s1, 0
	s_mul_i32 s0, s23, s0
	s_add_u32 s0, s7, s0
	s_addc_u32 s7, 0, s1
	s_add_u32 s22, s25, s0
	s_cselect_b64 s[0:1], -1, 0
	s_cmp_lg_u64 s[0:1], 0
	v_add_co_u32_e32 v2, vcc, v0, v12
	s_addc_u32 s7, s23, s7
	v_xor_b32_e32 v6, v2, v12
	v_mad_u64_u32 v[2:3], s[0:1], v6, s7, 0
	v_mul_hi_u32 v5, v6, s22
	v_addc_co_u32_e32 v4, vcc, v1, v12, vcc
	v_xor_b32_e32 v7, v4, v12
	v_add_co_u32_e32 v8, vcc, v5, v2
	v_addc_co_u32_e32 v9, vcc, 0, v3, vcc
	v_mad_u64_u32 v[2:3], s[0:1], v7, s22, 0
	v_mad_u64_u32 v[4:5], s[0:1], v7, s7, 0
	v_add_co_u32_e32 v2, vcc, v8, v2
	v_addc_co_u32_e32 v2, vcc, v9, v3, vcc
	v_addc_co_u32_e32 v3, vcc, 0, v5, vcc
	v_add_co_u32_e32 v4, vcc, v2, v4
	v_addc_co_u32_e32 v5, vcc, 0, v3, vcc
	v_mul_lo_u32 v8, s17, v4
	v_mul_lo_u32 v9, s16, v5
	v_mad_u64_u32 v[2:3], s[0:1], s16, v4, 0
	v_add3_u32 v3, v3, v9, v8
	v_sub_u32_e32 v8, v7, v3
	v_mov_b32_e32 v9, s17
	v_sub_co_u32_e32 v2, vcc, v6, v2
	v_subb_co_u32_e64 v6, s[0:1], v8, v9, vcc
	v_subrev_co_u32_e64 v8, s[0:1], s16, v2
	v_subbrev_co_u32_e64 v6, s[0:1], 0, v6, s[0:1]
	v_cmp_le_u32_e64 s[0:1], s17, v6
	v_cndmask_b32_e64 v9, 0, -1, s[0:1]
	v_cmp_le_u32_e64 s[0:1], s16, v8
	v_cndmask_b32_e64 v8, 0, -1, s[0:1]
	v_cmp_eq_u32_e64 s[0:1], s17, v6
	v_cndmask_b32_e64 v6, v9, v8, s[0:1]
	v_add_co_u32_e64 v8, s[0:1], 2, v4
	v_subb_co_u32_e32 v3, vcc, v7, v3, vcc
	v_addc_co_u32_e64 v9, s[0:1], 0, v5, s[0:1]
	v_cmp_le_u32_e32 vcc, s17, v3
	v_add_co_u32_e64 v10, s[0:1], 1, v4
	v_cndmask_b32_e64 v7, 0, -1, vcc
	v_cmp_le_u32_e32 vcc, s16, v2
	v_addc_co_u32_e64 v11, s[0:1], 0, v5, s[0:1]
	v_cndmask_b32_e64 v2, 0, -1, vcc
	v_cmp_eq_u32_e32 vcc, s17, v3
	v_cmp_ne_u32_e64 s[0:1], 0, v6
	v_cndmask_b32_e32 v2, v7, v2, vcc
	v_cndmask_b32_e64 v6, v11, v9, s[0:1]
	v_cmp_ne_u32_e32 vcc, 0, v2
	v_cndmask_b32_e64 v3, v10, v8, s[0:1]
	v_cndmask_b32_e32 v2, v5, v6, vcc
	v_cndmask_b32_e32 v3, v4, v3, vcc
	v_xor_b32_e32 v5, s6, v12
	v_xor_b32_e32 v3, v3, v5
	;; [unrolled: 1-line block ×3, first 2 shown]
	v_sub_co_u32_e32 v4, vcc, v3, v5
	v_subb_co_u32_e32 v5, vcc, v2, v5, vcc
.LBB0_3:
	s_andn2_saveexec_b64 s[0:1], s[2:3]
	s_cbranch_execz .LBB0_5
; %bb.4:
	v_cvt_f32_u32_e32 v2, s8
	s_sub_i32 s2, 0, s8
	v_rcp_iflag_f32_e32 v2, v2
	v_mul_f32_e32 v2, 0x4f7ffffe, v2
	v_cvt_u32_f32_e32 v2, v2
	v_mul_lo_u32 v3, s2, v2
	v_mul_hi_u32 v3, v2, v3
	v_add_u32_e32 v2, v2, v3
	v_mul_hi_u32 v2, v0, v2
	v_mul_lo_u32 v3, v2, s8
	v_add_u32_e32 v4, 1, v2
	v_sub_u32_e32 v3, v0, v3
	v_subrev_u32_e32 v5, s8, v3
	v_cmp_le_u32_e32 vcc, s8, v3
	v_cndmask_b32_e32 v3, v3, v5, vcc
	v_cndmask_b32_e32 v2, v2, v4, vcc
	v_add_u32_e32 v4, 1, v2
	v_cmp_le_u32_e32 vcc, s8, v3
	v_cndmask_b32_e32 v4, v2, v4, vcc
	v_mov_b32_e32 v5, 0
.LBB0_5:
	s_or_b64 exec, exec, s[0:1]
	v_or_b32_e32 v3, s11, v5
	v_mov_b32_e32 v2, 0
	v_cmp_ne_u64_e32 vcc, 0, v[2:3]
                                        ; implicit-def: $vgpr2_vgpr3
	s_and_saveexec_b64 s[0:1], vcc
	s_xor_b64 s[6:7], exec, s[0:1]
	s_cbranch_execz .LBB0_7
; %bb.6:
	s_ashr_i32 s0, s11, 31
	s_add_u32 s2, s10, s0
	s_mov_b32 s1, s0
	s_addc_u32 s3, s11, s0
	s_xor_b64 s[16:17], s[2:3], s[0:1]
	v_cvt_f32_u32_e32 v2, s16
	v_cvt_f32_u32_e32 v3, s17
	s_sub_u32 s2, 0, s16
	s_subb_u32 s3, 0, s17
	v_ashrrev_i32_e32 v8, 31, v5
	v_madmk_f32 v2, v3, 0x4f800000, v2
	v_rcp_f32_e32 v2, v2
	v_mul_f32_e32 v2, 0x5f7ffffc, v2
	v_mul_f32_e32 v3, 0x2f800000, v2
	v_trunc_f32_e32 v3, v3
	v_madmk_f32 v2, v3, 0xcf800000, v2
	v_cvt_u32_f32_e32 v3, v3
	v_cvt_u32_f32_e32 v2, v2
	v_readfirstlane_b32 s22, v3
	v_readfirstlane_b32 s0, v2
	s_mul_i32 s1, s2, s22
	s_mul_hi_u32 s24, s2, s0
	s_mul_i32 s23, s3, s0
	s_add_i32 s1, s24, s1
	s_add_i32 s1, s1, s23
	s_mul_i32 s25, s2, s0
	s_mul_i32 s24, s0, s1
	s_mul_hi_u32 s26, s0, s25
	s_mul_hi_u32 s23, s0, s1
	s_add_u32 s24, s26, s24
	s_addc_u32 s23, 0, s23
	s_mul_hi_u32 s27, s22, s25
	s_mul_i32 s25, s22, s25
	s_add_u32 s24, s24, s25
	s_mul_hi_u32 s26, s22, s1
	s_addc_u32 s23, s23, s27
	s_addc_u32 s24, s26, 0
	s_mul_i32 s1, s22, s1
	s_add_u32 s1, s23, s1
	s_addc_u32 s23, 0, s24
	s_add_u32 s24, s0, s1
	s_cselect_b64 s[0:1], -1, 0
	s_cmp_lg_u64 s[0:1], 0
	s_addc_u32 s22, s22, s23
	s_mul_i32 s0, s2, s22
	s_mul_hi_u32 s1, s2, s24
	s_add_i32 s0, s1, s0
	s_mul_i32 s3, s3, s24
	s_add_i32 s0, s0, s3
	s_mul_i32 s2, s2, s24
	s_mul_hi_u32 s3, s22, s2
	s_mul_i32 s23, s22, s2
	s_mul_i32 s26, s24, s0
	s_mul_hi_u32 s2, s24, s2
	s_mul_hi_u32 s25, s24, s0
	s_add_u32 s2, s2, s26
	s_addc_u32 s25, 0, s25
	s_add_u32 s2, s2, s23
	s_mul_hi_u32 s1, s22, s0
	s_addc_u32 s2, s25, s3
	s_addc_u32 s1, s1, 0
	s_mul_i32 s0, s22, s0
	s_add_u32 s0, s2, s0
	s_addc_u32 s2, 0, s1
	s_add_u32 s3, s24, s0
	s_cselect_b64 s[0:1], -1, 0
	s_cmp_lg_u64 s[0:1], 0
	v_add_co_u32_e32 v2, vcc, v4, v8
	s_addc_u32 s2, s22, s2
	v_xor_b32_e32 v9, v2, v8
	v_mad_u64_u32 v[2:3], s[0:1], v9, s2, 0
	v_mul_hi_u32 v7, v9, s3
	v_addc_co_u32_e32 v6, vcc, v5, v8, vcc
	v_xor_b32_e32 v10, v6, v8
	v_add_co_u32_e32 v11, vcc, v7, v2
	v_addc_co_u32_e32 v13, vcc, 0, v3, vcc
	v_mad_u64_u32 v[2:3], s[0:1], v10, s3, 0
	v_mad_u64_u32 v[6:7], s[0:1], v10, s2, 0
	v_add_co_u32_e32 v2, vcc, v11, v2
	v_addc_co_u32_e32 v2, vcc, v13, v3, vcc
	v_addc_co_u32_e32 v3, vcc, 0, v7, vcc
	v_add_co_u32_e32 v2, vcc, v2, v6
	v_addc_co_u32_e32 v3, vcc, 0, v3, vcc
	v_mul_lo_u32 v6, s17, v2
	v_mul_lo_u32 v7, s16, v3
	v_mad_u64_u32 v[2:3], s[0:1], s16, v2, 0
	v_add3_u32 v3, v3, v7, v6
	v_sub_u32_e32 v6, v10, v3
	v_mov_b32_e32 v7, s17
	v_sub_co_u32_e32 v2, vcc, v9, v2
	v_subb_co_u32_e64 v6, s[0:1], v6, v7, vcc
	v_subrev_co_u32_e64 v9, s[0:1], s16, v2
	v_subbrev_co_u32_e64 v11, s[2:3], 0, v6, s[0:1]
	v_cmp_le_u32_e64 s[2:3], s17, v11
	v_cndmask_b32_e64 v13, 0, -1, s[2:3]
	v_cmp_le_u32_e64 s[2:3], s16, v9
	v_subb_co_u32_e64 v6, s[0:1], v6, v7, s[0:1]
	v_cndmask_b32_e64 v14, 0, -1, s[2:3]
	v_cmp_eq_u32_e64 s[2:3], s17, v11
	v_subrev_co_u32_e64 v7, s[0:1], s16, v9
	v_subb_co_u32_e32 v3, vcc, v10, v3, vcc
	v_cndmask_b32_e64 v13, v13, v14, s[2:3]
	v_subbrev_co_u32_e64 v6, s[0:1], 0, v6, s[0:1]
	v_cmp_le_u32_e32 vcc, s17, v3
	v_cmp_ne_u32_e64 s[0:1], 0, v13
	v_cndmask_b32_e64 v10, 0, -1, vcc
	v_cmp_le_u32_e32 vcc, s16, v2
	v_cndmask_b32_e64 v6, v11, v6, s[0:1]
	v_cndmask_b32_e64 v11, 0, -1, vcc
	v_cmp_eq_u32_e32 vcc, s17, v3
	v_cndmask_b32_e32 v10, v10, v11, vcc
	v_cmp_ne_u32_e32 vcc, 0, v10
	v_cndmask_b32_e32 v3, v3, v6, vcc
	v_cndmask_b32_e64 v6, v9, v7, s[0:1]
	v_cndmask_b32_e32 v2, v2, v6, vcc
	v_xor_b32_e32 v2, v2, v8
	v_xor_b32_e32 v3, v3, v8
	v_sub_co_u32_e32 v2, vcc, v2, v8
	v_subb_co_u32_e32 v3, vcc, v3, v8, vcc
.LBB0_7:
	s_andn2_saveexec_b64 s[0:1], s[6:7]
	s_cbranch_execz .LBB0_9
; %bb.8:
	v_cvt_f32_u32_e32 v2, s10
	s_sub_i32 s2, 0, s10
	v_rcp_iflag_f32_e32 v2, v2
	v_mul_f32_e32 v2, 0x4f7ffffe, v2
	v_cvt_u32_f32_e32 v2, v2
	v_mul_lo_u32 v3, s2, v2
	v_mul_hi_u32 v3, v2, v3
	v_add_u32_e32 v2, v2, v3
	v_mul_hi_u32 v2, v4, v2
	v_mul_lo_u32 v2, v2, s10
	v_sub_u32_e32 v2, v4, v2
	v_subrev_u32_e32 v3, s10, v2
	v_cmp_le_u32_e32 vcc, s10, v2
	v_cndmask_b32_e32 v2, v2, v3, vcc
	v_subrev_u32_e32 v3, s10, v2
	v_cmp_le_u32_e32 vcc, s10, v2
	v_cndmask_b32_e32 v2, v2, v3, vcc
	v_mov_b32_e32 v3, 0
.LBB0_9:
	s_or_b64 exec, exec, s[0:1]
	v_or_b32_e32 v7, s18, v1
	v_mov_b32_e32 v6, 0
	v_cmp_ne_u64_e32 vcc, 0, v[6:7]
                                        ; implicit-def: $vgpr8_vgpr9
	s_and_saveexec_b64 s[0:1], vcc
	s_xor_b64 s[2:3], exec, s[0:1]
	s_cbranch_execz .LBB0_11
; %bb.10:
	s_ashr_i32 s6, s18, 31
	s_add_u32 s0, s19, s6
	s_mov_b32 s7, s6
	s_addc_u32 s1, s18, s6
	s_xor_b64 s[16:17], s[0:1], s[6:7]
	v_cvt_f32_u32_e32 v6, s16
	v_cvt_f32_u32_e32 v7, s17
	s_sub_u32 s7, 0, s16
	s_subb_u32 s22, 0, s17
	v_madmk_f32 v6, v7, 0x4f800000, v6
	v_rcp_f32_e32 v6, v6
	v_mul_f32_e32 v6, 0x5f7ffffc, v6
	v_mul_f32_e32 v7, 0x2f800000, v6
	v_trunc_f32_e32 v7, v7
	v_madmk_f32 v6, v7, 0xcf800000, v6
	v_cvt_u32_f32_e32 v7, v7
	v_cvt_u32_f32_e32 v6, v6
	v_readfirstlane_b32 s23, v7
	v_readfirstlane_b32 s0, v6
	s_mul_i32 s1, s7, s23
	s_mul_hi_u32 s25, s7, s0
	s_mul_i32 s24, s22, s0
	s_add_i32 s1, s25, s1
	s_add_i32 s1, s1, s24
	s_mul_i32 s26, s7, s0
	s_mul_i32 s25, s0, s1
	s_mul_hi_u32 s27, s0, s26
	s_mul_hi_u32 s24, s0, s1
	s_add_u32 s25, s27, s25
	s_addc_u32 s24, 0, s24
	s_mul_hi_u32 s28, s23, s26
	s_mul_i32 s26, s23, s26
	s_add_u32 s25, s25, s26
	s_mul_hi_u32 s27, s23, s1
	s_addc_u32 s24, s24, s28
	s_addc_u32 s25, s27, 0
	s_mul_i32 s1, s23, s1
	s_add_u32 s1, s24, s1
	s_addc_u32 s24, 0, s25
	s_add_u32 s25, s0, s1
	s_cselect_b64 s[0:1], -1, 0
	s_cmp_lg_u64 s[0:1], 0
	s_addc_u32 s23, s23, s24
	s_mul_i32 s0, s7, s23
	s_mul_hi_u32 s1, s7, s25
	s_add_i32 s0, s1, s0
	s_mul_i32 s22, s22, s25
	s_add_i32 s0, s0, s22
	s_mul_i32 s7, s7, s25
	s_mul_hi_u32 s22, s23, s7
	s_mul_i32 s24, s23, s7
	s_mul_i32 s27, s25, s0
	s_mul_hi_u32 s7, s25, s7
	s_mul_hi_u32 s26, s25, s0
	s_add_u32 s7, s7, s27
	s_addc_u32 s26, 0, s26
	s_add_u32 s7, s7, s24
	s_mul_hi_u32 s1, s23, s0
	s_addc_u32 s7, s26, s22
	s_addc_u32 s1, s1, 0
	s_mul_i32 s0, s23, s0
	s_add_u32 s0, s7, s0
	s_addc_u32 s7, 0, s1
	s_add_u32 s22, s25, s0
	s_cselect_b64 s[0:1], -1, 0
	s_cmp_lg_u64 s[0:1], 0
	v_add_co_u32_e32 v6, vcc, v0, v12
	s_addc_u32 s7, s23, s7
	v_xor_b32_e32 v10, v6, v12
	v_mad_u64_u32 v[6:7], s[0:1], v10, s7, 0
	v_mul_hi_u32 v9, v10, s22
	v_addc_co_u32_e32 v8, vcc, v1, v12, vcc
	v_xor_b32_e32 v11, v8, v12
	v_add_co_u32_e32 v13, vcc, v9, v6
	v_addc_co_u32_e32 v14, vcc, 0, v7, vcc
	v_mad_u64_u32 v[6:7], s[0:1], v11, s22, 0
	v_mad_u64_u32 v[8:9], s[0:1], v11, s7, 0
	v_add_co_u32_e32 v6, vcc, v13, v6
	v_addc_co_u32_e32 v6, vcc, v14, v7, vcc
	v_addc_co_u32_e32 v7, vcc, 0, v9, vcc
	v_add_co_u32_e32 v8, vcc, v6, v8
	v_addc_co_u32_e32 v9, vcc, 0, v7, vcc
	v_mul_lo_u32 v13, s17, v8
	v_mul_lo_u32 v14, s16, v9
	v_mad_u64_u32 v[6:7], s[0:1], s16, v8, 0
	v_add3_u32 v7, v7, v14, v13
	v_sub_u32_e32 v13, v11, v7
	v_mov_b32_e32 v14, s17
	v_sub_co_u32_e32 v6, vcc, v10, v6
	v_subb_co_u32_e64 v10, s[0:1], v13, v14, vcc
	v_subrev_co_u32_e64 v13, s[0:1], s16, v6
	v_subbrev_co_u32_e64 v10, s[0:1], 0, v10, s[0:1]
	v_cmp_le_u32_e64 s[0:1], s17, v10
	v_cndmask_b32_e64 v14, 0, -1, s[0:1]
	v_cmp_le_u32_e64 s[0:1], s16, v13
	v_cndmask_b32_e64 v13, 0, -1, s[0:1]
	v_cmp_eq_u32_e64 s[0:1], s17, v10
	v_cndmask_b32_e64 v10, v14, v13, s[0:1]
	v_add_co_u32_e64 v13, s[0:1], 2, v8
	v_subb_co_u32_e32 v7, vcc, v11, v7, vcc
	v_addc_co_u32_e64 v14, s[0:1], 0, v9, s[0:1]
	v_cmp_le_u32_e32 vcc, s17, v7
	v_add_co_u32_e64 v15, s[0:1], 1, v8
	v_cndmask_b32_e64 v11, 0, -1, vcc
	v_cmp_le_u32_e32 vcc, s16, v6
	v_addc_co_u32_e64 v16, s[0:1], 0, v9, s[0:1]
	v_cndmask_b32_e64 v6, 0, -1, vcc
	v_cmp_eq_u32_e32 vcc, s17, v7
	v_cmp_ne_u32_e64 s[0:1], 0, v10
	v_cndmask_b32_e32 v6, v11, v6, vcc
	v_cndmask_b32_e64 v10, v16, v14, s[0:1]
	v_cmp_ne_u32_e32 vcc, 0, v6
	v_cndmask_b32_e64 v7, v15, v13, s[0:1]
	v_cndmask_b32_e32 v6, v9, v10, vcc
	v_cndmask_b32_e32 v7, v8, v7, vcc
	v_xor_b32_e32 v9, s6, v12
	v_xor_b32_e32 v7, v7, v9
	;; [unrolled: 1-line block ×3, first 2 shown]
	v_sub_co_u32_e32 v8, vcc, v7, v9
	v_subb_co_u32_e32 v9, vcc, v6, v9, vcc
.LBB0_11:
	s_andn2_saveexec_b64 s[0:1], s[2:3]
	s_cbranch_execz .LBB0_13
; %bb.12:
	v_cvt_f32_u32_e32 v6, s19
	s_sub_i32 s2, 0, s19
	v_rcp_iflag_f32_e32 v6, v6
	v_mul_f32_e32 v6, 0x4f7ffffe, v6
	v_cvt_u32_f32_e32 v6, v6
	v_mul_lo_u32 v7, s2, v6
	v_mul_hi_u32 v7, v6, v7
	v_add_u32_e32 v6, v6, v7
	v_mul_hi_u32 v6, v0, v6
	v_mul_lo_u32 v7, v6, s19
	v_add_u32_e32 v8, 1, v6
	v_sub_u32_e32 v7, v0, v7
	v_subrev_u32_e32 v9, s19, v7
	v_cmp_le_u32_e32 vcc, s19, v7
	v_cndmask_b32_e32 v7, v7, v9, vcc
	v_cndmask_b32_e32 v6, v6, v8, vcc
	v_add_u32_e32 v8, 1, v6
	v_cmp_le_u32_e32 vcc, s19, v7
	v_cndmask_b32_e32 v8, v6, v8, vcc
	v_mov_b32_e32 v9, 0
.LBB0_13:
	s_or_b64 exec, exec, s[0:1]
	v_or_b32_e32 v7, s13, v9
	v_mov_b32_e32 v6, 0
	v_cmp_ne_u64_e32 vcc, 0, v[6:7]
                                        ; implicit-def: $vgpr6_vgpr7
	s_and_saveexec_b64 s[0:1], vcc
	s_xor_b64 s[6:7], exec, s[0:1]
	s_cbranch_execz .LBB0_15
; %bb.14:
	s_ashr_i32 s0, s13, 31
	s_add_u32 s2, s12, s0
	s_mov_b32 s1, s0
	s_addc_u32 s3, s13, s0
	s_xor_b64 s[16:17], s[2:3], s[0:1]
	v_cvt_f32_u32_e32 v6, s16
	v_cvt_f32_u32_e32 v7, s17
	s_sub_u32 s2, 0, s16
	s_subb_u32 s3, 0, s17
	v_ashrrev_i32_e32 v10, 31, v9
	v_madmk_f32 v6, v7, 0x4f800000, v6
	v_rcp_f32_e32 v6, v6
	v_mul_f32_e32 v6, 0x5f7ffffc, v6
	v_mul_f32_e32 v7, 0x2f800000, v6
	v_trunc_f32_e32 v7, v7
	v_madmk_f32 v6, v7, 0xcf800000, v6
	v_cvt_u32_f32_e32 v7, v7
	v_cvt_u32_f32_e32 v6, v6
	v_readfirstlane_b32 s22, v7
	v_readfirstlane_b32 s0, v6
	s_mul_i32 s1, s2, s22
	s_mul_hi_u32 s24, s2, s0
	s_mul_i32 s23, s3, s0
	s_add_i32 s1, s24, s1
	s_add_i32 s1, s1, s23
	s_mul_i32 s25, s2, s0
	s_mul_i32 s24, s0, s1
	s_mul_hi_u32 s26, s0, s25
	s_mul_hi_u32 s23, s0, s1
	s_add_u32 s24, s26, s24
	s_addc_u32 s23, 0, s23
	s_mul_hi_u32 s27, s22, s25
	s_mul_i32 s25, s22, s25
	s_add_u32 s24, s24, s25
	s_mul_hi_u32 s26, s22, s1
	s_addc_u32 s23, s23, s27
	s_addc_u32 s24, s26, 0
	s_mul_i32 s1, s22, s1
	s_add_u32 s1, s23, s1
	s_addc_u32 s23, 0, s24
	s_add_u32 s24, s0, s1
	s_cselect_b64 s[0:1], -1, 0
	s_cmp_lg_u64 s[0:1], 0
	s_addc_u32 s22, s22, s23
	s_mul_i32 s0, s2, s22
	s_mul_hi_u32 s1, s2, s24
	s_add_i32 s0, s1, s0
	s_mul_i32 s3, s3, s24
	s_add_i32 s0, s0, s3
	s_mul_i32 s2, s2, s24
	s_mul_hi_u32 s3, s22, s2
	s_mul_i32 s23, s22, s2
	s_mul_i32 s26, s24, s0
	s_mul_hi_u32 s2, s24, s2
	s_mul_hi_u32 s25, s24, s0
	s_add_u32 s2, s2, s26
	s_addc_u32 s25, 0, s25
	s_add_u32 s2, s2, s23
	s_mul_hi_u32 s1, s22, s0
	s_addc_u32 s2, s25, s3
	s_addc_u32 s1, s1, 0
	s_mul_i32 s0, s22, s0
	s_add_u32 s0, s2, s0
	s_addc_u32 s2, 0, s1
	s_add_u32 s3, s24, s0
	s_cselect_b64 s[0:1], -1, 0
	s_cmp_lg_u64 s[0:1], 0
	v_add_co_u32_e32 v6, vcc, v8, v10
	s_addc_u32 s2, s22, s2
	v_xor_b32_e32 v11, v6, v10
	v_addc_co_u32_e32 v8, vcc, v9, v10, vcc
	v_mad_u64_u32 v[6:7], s[0:1], v11, s2, 0
	v_mul_hi_u32 v9, v11, s3
	v_xor_b32_e32 v13, v8, v10
	v_add_co_u32_e32 v14, vcc, v9, v6
	v_addc_co_u32_e32 v15, vcc, 0, v7, vcc
	v_mad_u64_u32 v[6:7], s[0:1], v13, s3, 0
	v_mad_u64_u32 v[8:9], s[0:1], v13, s2, 0
	v_add_co_u32_e32 v6, vcc, v14, v6
	v_addc_co_u32_e32 v6, vcc, v15, v7, vcc
	v_addc_co_u32_e32 v7, vcc, 0, v9, vcc
	v_add_co_u32_e32 v6, vcc, v6, v8
	v_addc_co_u32_e32 v7, vcc, 0, v7, vcc
	v_mul_lo_u32 v8, s17, v6
	v_mul_lo_u32 v9, s16, v7
	v_mad_u64_u32 v[6:7], s[0:1], s16, v6, 0
	v_add3_u32 v7, v7, v9, v8
	v_sub_u32_e32 v8, v13, v7
	v_mov_b32_e32 v9, s17
	v_sub_co_u32_e32 v6, vcc, v11, v6
	v_subb_co_u32_e64 v8, s[0:1], v8, v9, vcc
	v_subrev_co_u32_e64 v11, s[0:1], s16, v6
	v_subbrev_co_u32_e64 v14, s[2:3], 0, v8, s[0:1]
	v_cmp_le_u32_e64 s[2:3], s17, v14
	v_cndmask_b32_e64 v15, 0, -1, s[2:3]
	v_cmp_le_u32_e64 s[2:3], s16, v11
	v_subb_co_u32_e64 v8, s[0:1], v8, v9, s[0:1]
	v_cndmask_b32_e64 v16, 0, -1, s[2:3]
	v_cmp_eq_u32_e64 s[2:3], s17, v14
	v_subrev_co_u32_e64 v9, s[0:1], s16, v11
	v_subb_co_u32_e32 v7, vcc, v13, v7, vcc
	v_cndmask_b32_e64 v15, v15, v16, s[2:3]
	v_subbrev_co_u32_e64 v8, s[0:1], 0, v8, s[0:1]
	v_cmp_le_u32_e32 vcc, s17, v7
	v_cmp_ne_u32_e64 s[0:1], 0, v15
	v_cndmask_b32_e64 v13, 0, -1, vcc
	v_cmp_le_u32_e32 vcc, s16, v6
	v_cndmask_b32_e64 v8, v14, v8, s[0:1]
	v_cndmask_b32_e64 v14, 0, -1, vcc
	v_cmp_eq_u32_e32 vcc, s17, v7
	v_cndmask_b32_e32 v13, v13, v14, vcc
	v_cmp_ne_u32_e32 vcc, 0, v13
	v_cndmask_b32_e32 v7, v7, v8, vcc
	v_cndmask_b32_e64 v8, v11, v9, s[0:1]
	v_cndmask_b32_e32 v6, v6, v8, vcc
	v_xor_b32_e32 v6, v6, v10
	v_xor_b32_e32 v7, v7, v10
	v_sub_co_u32_e32 v6, vcc, v6, v10
	v_subb_co_u32_e32 v7, vcc, v7, v10, vcc
                                        ; implicit-def: $vgpr8_vgpr9
.LBB0_15:
	s_andn2_saveexec_b64 s[0:1], s[6:7]
	s_cbranch_execz .LBB0_17
; %bb.16:
	v_cvt_f32_u32_e32 v6, s12
	s_sub_i32 s2, 0, s12
	v_rcp_iflag_f32_e32 v6, v6
	v_mul_f32_e32 v6, 0x4f7ffffe, v6
	v_cvt_u32_f32_e32 v6, v6
	v_mul_lo_u32 v7, s2, v6
	v_mul_hi_u32 v7, v6, v7
	v_add_u32_e32 v6, v6, v7
	v_mul_hi_u32 v6, v8, v6
	v_mul_lo_u32 v6, v6, s12
	v_sub_u32_e32 v6, v8, v6
	v_subrev_u32_e32 v7, s12, v6
	v_cmp_le_u32_e32 vcc, s12, v6
	v_cndmask_b32_e32 v6, v6, v7, vcc
	v_subrev_u32_e32 v7, s12, v6
	v_cmp_le_u32_e32 vcc, s12, v6
	v_cndmask_b32_e32 v6, v6, v7, vcc
	v_mov_b32_e32 v7, 0
.LBB0_17:
	s_or_b64 exec, exec, s[0:1]
	v_or_b32_e32 v9, s20, v1
	v_mov_b32_e32 v8, 0
	v_cmp_ne_u64_e32 vcc, 0, v[8:9]
                                        ; implicit-def: $vgpr10_vgpr11
	s_and_saveexec_b64 s[0:1], vcc
	s_xor_b64 s[2:3], exec, s[0:1]
	s_cbranch_execz .LBB0_19
; %bb.18:
	s_ashr_i32 s6, s20, 31
	s_add_u32 s0, s21, s6
	s_mov_b32 s7, s6
	s_addc_u32 s1, s20, s6
	s_xor_b64 s[16:17], s[0:1], s[6:7]
	v_cvt_f32_u32_e32 v8, s16
	v_cvt_f32_u32_e32 v9, s17
	s_sub_u32 s7, 0, s16
	s_subb_u32 s22, 0, s17
	v_madmk_f32 v8, v9, 0x4f800000, v8
	v_rcp_f32_e32 v8, v8
	v_mul_f32_e32 v8, 0x5f7ffffc, v8
	v_mul_f32_e32 v9, 0x2f800000, v8
	v_trunc_f32_e32 v9, v9
	v_madmk_f32 v8, v9, 0xcf800000, v8
	v_cvt_u32_f32_e32 v9, v9
	v_cvt_u32_f32_e32 v8, v8
	v_readfirstlane_b32 s23, v9
	v_readfirstlane_b32 s0, v8
	s_mul_i32 s1, s7, s23
	s_mul_hi_u32 s25, s7, s0
	s_mul_i32 s24, s22, s0
	s_add_i32 s1, s25, s1
	s_add_i32 s1, s1, s24
	s_mul_i32 s26, s7, s0
	s_mul_i32 s25, s0, s1
	s_mul_hi_u32 s27, s0, s26
	s_mul_hi_u32 s24, s0, s1
	s_add_u32 s25, s27, s25
	s_addc_u32 s24, 0, s24
	s_mul_hi_u32 s28, s23, s26
	s_mul_i32 s26, s23, s26
	s_add_u32 s25, s25, s26
	s_mul_hi_u32 s27, s23, s1
	s_addc_u32 s24, s24, s28
	s_addc_u32 s25, s27, 0
	s_mul_i32 s1, s23, s1
	s_add_u32 s1, s24, s1
	s_addc_u32 s24, 0, s25
	s_add_u32 s25, s0, s1
	s_cselect_b64 s[0:1], -1, 0
	s_cmp_lg_u64 s[0:1], 0
	s_addc_u32 s23, s23, s24
	s_mul_i32 s0, s7, s23
	s_mul_hi_u32 s1, s7, s25
	s_add_i32 s0, s1, s0
	s_mul_i32 s22, s22, s25
	s_add_i32 s0, s0, s22
	s_mul_i32 s7, s7, s25
	s_mul_hi_u32 s22, s23, s7
	s_mul_i32 s24, s23, s7
	s_mul_i32 s27, s25, s0
	s_mul_hi_u32 s7, s25, s7
	s_mul_hi_u32 s26, s25, s0
	s_add_u32 s7, s7, s27
	s_addc_u32 s26, 0, s26
	s_add_u32 s7, s7, s24
	s_mul_hi_u32 s1, s23, s0
	s_addc_u32 s7, s26, s22
	s_addc_u32 s1, s1, 0
	s_mul_i32 s0, s23, s0
	s_add_u32 s0, s7, s0
	s_addc_u32 s7, 0, s1
	s_add_u32 s22, s25, s0
	s_cselect_b64 s[0:1], -1, 0
	s_cmp_lg_u64 s[0:1], 0
	v_add_co_u32_e32 v8, vcc, v0, v12
	s_addc_u32 s7, s23, s7
	v_xor_b32_e32 v13, v8, v12
	v_mad_u64_u32 v[8:9], s[0:1], v13, s7, 0
	v_mul_hi_u32 v11, v13, s22
	v_addc_co_u32_e32 v10, vcc, v1, v12, vcc
	v_xor_b32_e32 v14, v10, v12
	v_add_co_u32_e32 v15, vcc, v11, v8
	v_addc_co_u32_e32 v16, vcc, 0, v9, vcc
	v_mad_u64_u32 v[8:9], s[0:1], v14, s22, 0
	v_mad_u64_u32 v[10:11], s[0:1], v14, s7, 0
	v_add_co_u32_e32 v8, vcc, v15, v8
	v_addc_co_u32_e32 v8, vcc, v16, v9, vcc
	v_addc_co_u32_e32 v9, vcc, 0, v11, vcc
	v_add_co_u32_e32 v10, vcc, v8, v10
	v_addc_co_u32_e32 v11, vcc, 0, v9, vcc
	v_mul_lo_u32 v15, s17, v10
	v_mul_lo_u32 v16, s16, v11
	v_mad_u64_u32 v[8:9], s[0:1], s16, v10, 0
	v_add3_u32 v9, v9, v16, v15
	v_sub_u32_e32 v15, v14, v9
	v_mov_b32_e32 v16, s17
	v_sub_co_u32_e32 v8, vcc, v13, v8
	v_subb_co_u32_e64 v13, s[0:1], v15, v16, vcc
	v_subrev_co_u32_e64 v15, s[0:1], s16, v8
	v_subbrev_co_u32_e64 v13, s[0:1], 0, v13, s[0:1]
	v_cmp_le_u32_e64 s[0:1], s17, v13
	v_cndmask_b32_e64 v16, 0, -1, s[0:1]
	v_cmp_le_u32_e64 s[0:1], s16, v15
	v_cndmask_b32_e64 v15, 0, -1, s[0:1]
	v_cmp_eq_u32_e64 s[0:1], s17, v13
	v_cndmask_b32_e64 v13, v16, v15, s[0:1]
	v_add_co_u32_e64 v15, s[0:1], 2, v10
	v_subb_co_u32_e32 v9, vcc, v14, v9, vcc
	v_addc_co_u32_e64 v16, s[0:1], 0, v11, s[0:1]
	v_cmp_le_u32_e32 vcc, s17, v9
	v_add_co_u32_e64 v17, s[0:1], 1, v10
	v_cndmask_b32_e64 v14, 0, -1, vcc
	v_cmp_le_u32_e32 vcc, s16, v8
	v_addc_co_u32_e64 v18, s[0:1], 0, v11, s[0:1]
	v_cndmask_b32_e64 v8, 0, -1, vcc
	v_cmp_eq_u32_e32 vcc, s17, v9
	v_cmp_ne_u32_e64 s[0:1], 0, v13
	v_cndmask_b32_e32 v8, v14, v8, vcc
	v_cndmask_b32_e64 v13, v18, v16, s[0:1]
	v_cmp_ne_u32_e32 vcc, 0, v8
	v_cndmask_b32_e64 v9, v17, v15, s[0:1]
	v_cndmask_b32_e32 v8, v11, v13, vcc
	v_cndmask_b32_e32 v9, v10, v9, vcc
	v_xor_b32_e32 v11, s6, v12
	v_xor_b32_e32 v9, v9, v11
	;; [unrolled: 1-line block ×3, first 2 shown]
	v_sub_co_u32_e32 v10, vcc, v9, v11
	v_subb_co_u32_e32 v11, vcc, v8, v11, vcc
.LBB0_19:
	s_andn2_saveexec_b64 s[0:1], s[2:3]
	s_cbranch_execz .LBB0_21
; %bb.20:
	v_cvt_f32_u32_e32 v8, s21
	s_sub_i32 s2, 0, s21
	v_rcp_iflag_f32_e32 v8, v8
	v_mul_f32_e32 v8, 0x4f7ffffe, v8
	v_cvt_u32_f32_e32 v8, v8
	v_mul_lo_u32 v9, s2, v8
	v_mul_hi_u32 v9, v8, v9
	v_add_u32_e32 v8, v8, v9
	v_mul_hi_u32 v8, v0, v8
	v_mul_lo_u32 v9, v8, s21
	v_add_u32_e32 v10, 1, v8
	v_sub_u32_e32 v9, v0, v9
	v_subrev_u32_e32 v11, s21, v9
	v_cmp_le_u32_e32 vcc, s21, v9
	v_cndmask_b32_e32 v9, v9, v11, vcc
	v_cndmask_b32_e32 v8, v8, v10, vcc
	v_add_u32_e32 v10, 1, v8
	v_cmp_le_u32_e32 vcc, s21, v9
	v_cndmask_b32_e32 v10, v8, v10, vcc
	v_mov_b32_e32 v11, 0
.LBB0_21:
	s_or_b64 exec, exec, s[0:1]
	v_or_b32_e32 v9, s15, v11
	v_mov_b32_e32 v8, 0
	v_cmp_ne_u64_e32 vcc, 0, v[8:9]
                                        ; implicit-def: $vgpr8_vgpr9
	s_and_saveexec_b64 s[0:1], vcc
	s_xor_b64 s[6:7], exec, s[0:1]
	s_cbranch_execz .LBB0_23
; %bb.22:
	s_ashr_i32 s0, s15, 31
	s_add_u32 s2, s14, s0
	s_mov_b32 s1, s0
	s_addc_u32 s3, s15, s0
	s_xor_b64 s[16:17], s[2:3], s[0:1]
	v_cvt_f32_u32_e32 v8, s16
	v_cvt_f32_u32_e32 v9, s17
	s_sub_u32 s2, 0, s16
	s_subb_u32 s3, 0, s17
	v_ashrrev_i32_e32 v12, 31, v11
	v_madmk_f32 v8, v9, 0x4f800000, v8
	v_rcp_f32_e32 v8, v8
	v_mul_f32_e32 v8, 0x5f7ffffc, v8
	v_mul_f32_e32 v9, 0x2f800000, v8
	v_trunc_f32_e32 v9, v9
	v_madmk_f32 v8, v9, 0xcf800000, v8
	v_cvt_u32_f32_e32 v9, v9
	v_cvt_u32_f32_e32 v8, v8
	v_readfirstlane_b32 s22, v9
	v_readfirstlane_b32 s0, v8
	s_mul_i32 s1, s2, s22
	s_mul_hi_u32 s24, s2, s0
	s_mul_i32 s23, s3, s0
	s_add_i32 s1, s24, s1
	s_add_i32 s1, s1, s23
	s_mul_i32 s25, s2, s0
	s_mul_i32 s24, s0, s1
	s_mul_hi_u32 s26, s0, s25
	s_mul_hi_u32 s23, s0, s1
	s_add_u32 s24, s26, s24
	s_addc_u32 s23, 0, s23
	s_mul_hi_u32 s27, s22, s25
	s_mul_i32 s25, s22, s25
	s_add_u32 s24, s24, s25
	s_mul_hi_u32 s26, s22, s1
	s_addc_u32 s23, s23, s27
	s_addc_u32 s24, s26, 0
	s_mul_i32 s1, s22, s1
	s_add_u32 s1, s23, s1
	s_addc_u32 s23, 0, s24
	s_add_u32 s24, s0, s1
	s_cselect_b64 s[0:1], -1, 0
	s_cmp_lg_u64 s[0:1], 0
	s_addc_u32 s22, s22, s23
	s_mul_i32 s0, s2, s22
	s_mul_hi_u32 s1, s2, s24
	s_add_i32 s0, s1, s0
	s_mul_i32 s3, s3, s24
	s_add_i32 s0, s0, s3
	s_mul_i32 s2, s2, s24
	s_mul_hi_u32 s3, s22, s2
	s_mul_i32 s23, s22, s2
	s_mul_i32 s26, s24, s0
	s_mul_hi_u32 s2, s24, s2
	s_mul_hi_u32 s25, s24, s0
	s_add_u32 s2, s2, s26
	s_addc_u32 s25, 0, s25
	s_add_u32 s2, s2, s23
	s_mul_hi_u32 s1, s22, s0
	s_addc_u32 s2, s25, s3
	s_addc_u32 s1, s1, 0
	s_mul_i32 s0, s22, s0
	s_add_u32 s0, s2, s0
	s_addc_u32 s2, 0, s1
	s_add_u32 s3, s24, s0
	s_cselect_b64 s[0:1], -1, 0
	s_cmp_lg_u64 s[0:1], 0
	v_add_co_u32_e32 v8, vcc, v10, v12
	s_addc_u32 s2, s22, s2
	v_xor_b32_e32 v13, v8, v12
	v_addc_co_u32_e32 v10, vcc, v11, v12, vcc
	v_mad_u64_u32 v[8:9], s[0:1], v13, s2, 0
	v_mul_hi_u32 v11, v13, s3
	v_xor_b32_e32 v14, v10, v12
	v_add_co_u32_e32 v15, vcc, v11, v8
	v_addc_co_u32_e32 v16, vcc, 0, v9, vcc
	v_mad_u64_u32 v[8:9], s[0:1], v14, s3, 0
	v_mad_u64_u32 v[10:11], s[0:1], v14, s2, 0
	v_add_co_u32_e32 v8, vcc, v15, v8
	v_addc_co_u32_e32 v8, vcc, v16, v9, vcc
	v_addc_co_u32_e32 v9, vcc, 0, v11, vcc
	v_add_co_u32_e32 v8, vcc, v8, v10
	v_addc_co_u32_e32 v9, vcc, 0, v9, vcc
	v_mul_lo_u32 v10, s17, v8
	v_mul_lo_u32 v11, s16, v9
	v_mad_u64_u32 v[8:9], s[0:1], s16, v8, 0
	v_add3_u32 v9, v9, v11, v10
	v_sub_u32_e32 v10, v14, v9
	v_mov_b32_e32 v11, s17
	v_sub_co_u32_e32 v8, vcc, v13, v8
	v_subb_co_u32_e64 v10, s[0:1], v10, v11, vcc
	v_subrev_co_u32_e64 v13, s[0:1], s16, v8
	v_subbrev_co_u32_e64 v15, s[2:3], 0, v10, s[0:1]
	v_cmp_le_u32_e64 s[2:3], s17, v15
	v_cndmask_b32_e64 v16, 0, -1, s[2:3]
	v_cmp_le_u32_e64 s[2:3], s16, v13
	v_subb_co_u32_e64 v10, s[0:1], v10, v11, s[0:1]
	v_cndmask_b32_e64 v17, 0, -1, s[2:3]
	v_cmp_eq_u32_e64 s[2:3], s17, v15
	v_subrev_co_u32_e64 v11, s[0:1], s16, v13
	v_subb_co_u32_e32 v9, vcc, v14, v9, vcc
	v_cndmask_b32_e64 v16, v16, v17, s[2:3]
	v_subbrev_co_u32_e64 v10, s[0:1], 0, v10, s[0:1]
	v_cmp_le_u32_e32 vcc, s17, v9
	v_cmp_ne_u32_e64 s[0:1], 0, v16
	v_cndmask_b32_e64 v14, 0, -1, vcc
	v_cmp_le_u32_e32 vcc, s16, v8
	v_cndmask_b32_e64 v10, v15, v10, s[0:1]
	v_cndmask_b32_e64 v15, 0, -1, vcc
	v_cmp_eq_u32_e32 vcc, s17, v9
	v_cndmask_b32_e32 v14, v14, v15, vcc
	v_cmp_ne_u32_e32 vcc, 0, v14
	v_cndmask_b32_e32 v9, v9, v10, vcc
	v_cndmask_b32_e64 v10, v13, v11, s[0:1]
	v_cndmask_b32_e32 v8, v8, v10, vcc
	v_xor_b32_e32 v8, v8, v12
	v_xor_b32_e32 v9, v9, v12
	v_sub_co_u32_e32 v8, vcc, v8, v12
	v_subb_co_u32_e32 v9, vcc, v9, v12, vcc
                                        ; implicit-def: $vgpr10_vgpr11
.LBB0_23:
	s_andn2_saveexec_b64 s[0:1], s[6:7]
	s_cbranch_execz .LBB0_25
; %bb.24:
	v_cvt_f32_u32_e32 v8, s14
	s_sub_i32 s2, 0, s14
	v_rcp_iflag_f32_e32 v8, v8
	v_mul_f32_e32 v8, 0x4f7ffffe, v8
	v_cvt_u32_f32_e32 v8, v8
	v_mul_lo_u32 v9, s2, v8
	v_mul_hi_u32 v9, v8, v9
	v_add_u32_e32 v8, v8, v9
	v_mul_hi_u32 v8, v10, v8
	v_mul_lo_u32 v8, v8, s14
	v_sub_u32_e32 v8, v10, v8
	v_subrev_u32_e32 v9, s14, v8
	v_cmp_le_u32_e32 vcc, s14, v8
	v_cndmask_b32_e32 v8, v8, v9, vcc
	v_subrev_u32_e32 v9, s14, v8
	v_cmp_le_u32_e32 vcc, s14, v8
	v_cndmask_b32_e32 v8, v8, v9, vcc
	v_mov_b32_e32 v9, 0
.LBB0_25:
	s_or_b64 exec, exec, s[0:1]
	v_mul_lo_u32 v10, v5, s8
	v_mul_lo_u32 v11, v4, s9
	v_mad_u64_u32 v[4:5], s[0:1], v4, s8, 0
	s_load_dwordx4 s[0:3], s[4:5], 0x30
	v_add3_u32 v5, v5, v11, v10
	v_sub_co_u32_e32 v0, vcc, v0, v4
	v_subb_co_u32_e32 v1, vcc, v1, v5, vcc
	s_waitcnt lgkmcnt(0)
	s_ashr_i32 s6, s0, 31
	v_mov_b32_e32 v4, s6
	v_subrev_co_u32_e32 v10, vcc, s0, v0
	v_subb_co_u32_e32 v11, vcc, v1, v4, vcc
	v_cmp_lt_i64_e32 vcc, -1, v[10:11]
                                        ; implicit-def: $vgpr4_vgpr5
	s_and_saveexec_b64 s[6:7], vcc
	s_xor_b64 s[6:7], exec, s[6:7]
; %bb.26:
	v_cmp_le_i64_e32 vcc, s[8:9], v[10:11]
	v_mov_b32_e32 v4, s9
	v_cndmask_b32_e32 v5, 0, v4, vcc
	v_mov_b32_e32 v4, s8
	v_cndmask_b32_e32 v4, 0, v4, vcc
	v_sub_co_u32_e32 v4, vcc, v10, v4
	v_subb_co_u32_e32 v5, vcc, v11, v5, vcc
                                        ; implicit-def: $vgpr10
; %bb.27:
	s_andn2_saveexec_b64 s[6:7], s[6:7]
; %bb.28:
	v_mov_b32_e32 v5, s9
	v_add_co_u32_e32 v4, vcc, s8, v10
	v_addc_co_u32_e32 v5, vcc, v11, v5, vcc
; %bb.29:
	s_or_b64 exec, exec, s[6:7]
	s_ashr_i32 s0, s1, 31
	v_mov_b32_e32 v10, s0
	v_subrev_co_u32_e32 v12, vcc, s1, v2
	v_subb_co_u32_e32 v13, vcc, v3, v10, vcc
	v_cmp_lt_i64_e32 vcc, -1, v[12:13]
                                        ; implicit-def: $vgpr10_vgpr11
	s_and_saveexec_b64 s[0:1], vcc
	s_xor_b64 s[0:1], exec, s[0:1]
; %bb.30:
	v_cmp_le_i64_e32 vcc, s[10:11], v[12:13]
	v_mov_b32_e32 v10, s11
	v_cndmask_b32_e32 v11, 0, v10, vcc
	v_mov_b32_e32 v10, s10
	v_cndmask_b32_e32 v10, 0, v10, vcc
	v_sub_co_u32_e32 v10, vcc, v12, v10
	v_subb_co_u32_e32 v11, vcc, v13, v11, vcc
                                        ; implicit-def: $vgpr12
; %bb.31:
	s_andn2_saveexec_b64 s[0:1], s[0:1]
; %bb.32:
	v_mov_b32_e32 v11, s11
	v_add_co_u32_e32 v10, vcc, s10, v12
	v_addc_co_u32_e32 v11, vcc, v13, v11, vcc
; %bb.33:
	s_or_b64 exec, exec, s[0:1]
	s_ashr_i32 s0, s2, 31
	v_mov_b32_e32 v12, s0
	v_subrev_co_u32_e32 v14, vcc, s2, v6
	v_subb_co_u32_e32 v15, vcc, v7, v12, vcc
	v_cmp_lt_i64_e32 vcc, -1, v[14:15]
                                        ; implicit-def: $vgpr12_vgpr13
	s_and_saveexec_b64 s[0:1], vcc
	s_xor_b64 s[0:1], exec, s[0:1]
; %bb.34:
	v_cmp_le_i64_e32 vcc, s[12:13], v[14:15]
	v_mov_b32_e32 v12, s13
	v_cndmask_b32_e32 v13, 0, v12, vcc
	v_mov_b32_e32 v12, s12
	v_cndmask_b32_e32 v12, 0, v12, vcc
	v_sub_co_u32_e32 v12, vcc, v14, v12
	v_subb_co_u32_e32 v13, vcc, v15, v13, vcc
                                        ; implicit-def: $vgpr14
; %bb.35:
	s_andn2_saveexec_b64 s[0:1], s[0:1]
; %bb.36:
	v_mov_b32_e32 v13, s13
	v_add_co_u32_e32 v12, vcc, s12, v14
	v_addc_co_u32_e32 v13, vcc, v15, v13, vcc
; %bb.37:
	s_or_b64 exec, exec, s[0:1]
	s_load_dwordx4 s[4:7], s[4:5], 0x0
	s_ashr_i32 s0, s3, 31
	v_mov_b32_e32 v15, s0
	v_subrev_co_u32_e32 v14, vcc, s3, v8
	v_subb_co_u32_e32 v15, vcc, v9, v15, vcc
	v_cmp_lt_i64_e32 vcc, -1, v[14:15]
                                        ; implicit-def: $vgpr16_vgpr17
	s_and_saveexec_b64 s[0:1], vcc
	s_xor_b64 s[0:1], exec, s[0:1]
; %bb.38:
	v_cmp_le_i64_e32 vcc, s[14:15], v[14:15]
	v_mov_b32_e32 v16, s15
	v_cndmask_b32_e32 v17, 0, v16, vcc
	v_mov_b32_e32 v16, s14
	v_cndmask_b32_e32 v16, 0, v16, vcc
	v_sub_co_u32_e32 v16, vcc, v14, v16
	v_subb_co_u32_e32 v17, vcc, v15, v17, vcc
                                        ; implicit-def: $vgpr14
; %bb.39:
	s_andn2_saveexec_b64 s[0:1], s[0:1]
; %bb.40:
	v_mov_b32_e32 v17, s15
	v_add_co_u32_e32 v16, vcc, s14, v14
	v_addc_co_u32_e32 v17, vcc, v15, v17, vcc
; %bb.41:
	s_or_b64 exec, exec, s[0:1]
	v_mul_lo_u32 v17, v17, s21
	v_mul_lo_u32 v18, v16, s20
	v_mad_u64_u32 v[14:15], s[0:1], v16, s21, 0
	v_mul_lo_u32 v16, v13, s19
	v_mul_lo_u32 v19, v10, s9
	v_add3_u32 v15, v15, v18, v17
	v_mul_lo_u32 v17, v12, s18
	v_mad_u64_u32 v[12:13], s[0:1], v12, s19, 0
	v_mul_lo_u32 v18, v11, s8
	v_mad_u64_u32 v[10:11], s[0:1], v10, s8, 0
	v_lshlrev_b64 v[14:15], 2, v[14:15]
	v_add3_u32 v13, v13, v17, v16
	s_waitcnt lgkmcnt(0)
	v_mov_b32_e32 v16, s5
	v_add_co_u32_e32 v14, vcc, s4, v14
	v_lshlrev_b64 v[12:13], 2, v[12:13]
	v_add3_u32 v11, v11, v19, v18
	v_addc_co_u32_e32 v15, vcc, v16, v15, vcc
	v_add_co_u32_e32 v12, vcc, v14, v12
	v_lshlrev_b64 v[10:11], 2, v[10:11]
	v_addc_co_u32_e32 v13, vcc, v15, v13, vcc
	v_add_co_u32_e32 v10, vcc, v12, v10
	v_lshlrev_b64 v[4:5], 2, v[4:5]
	v_addc_co_u32_e32 v11, vcc, v13, v11, vcc
	v_add_co_u32_e32 v4, vcc, v10, v4
	v_addc_co_u32_e32 v5, vcc, v11, v5, vcc
	global_load_dword v10, v[4:5], off
	v_mul_lo_u32 v9, v9, s21
	v_mul_lo_u32 v11, v8, s20
	v_mad_u64_u32 v[4:5], s[0:1], v8, s21, 0
	v_mul_lo_u32 v8, v7, s19
	v_mul_lo_u32 v12, v6, s18
	v_mad_u64_u32 v[6:7], s[0:1], v6, s19, 0
	v_add3_u32 v5, v5, v11, v9
	v_mul_lo_u32 v13, v3, s8
	v_mul_lo_u32 v14, v2, s9
	v_mad_u64_u32 v[2:3], s[0:1], v2, s8, 0
	v_lshlrev_b64 v[4:5], 2, v[4:5]
	v_add3_u32 v7, v7, v12, v8
	v_mov_b32_e32 v8, s7
	v_add_co_u32_e32 v9, vcc, s6, v4
	v_addc_co_u32_e32 v8, vcc, v8, v5, vcc
	v_lshlrev_b64 v[4:5], 2, v[6:7]
	v_add3_u32 v3, v3, v14, v13
	v_add_co_u32_e32 v4, vcc, v9, v4
	v_lshlrev_b64 v[2:3], 2, v[2:3]
	v_addc_co_u32_e32 v5, vcc, v8, v5, vcc
	v_add_co_u32_e32 v2, vcc, v4, v2
	v_lshlrev_b64 v[0:1], 2, v[0:1]
	v_addc_co_u32_e32 v3, vcc, v5, v3, vcc
	v_add_co_u32_e32 v0, vcc, v2, v0
	v_addc_co_u32_e32 v1, vcc, v3, v1, vcc
	s_waitcnt vmcnt(0)
	global_store_dword v[0:1], v10, off
.LBB0_42:
	s_endpgm
	.section	.rodata,"a",@progbits
	.p2align	6, 0x0
	.amdhsa_kernel _ZL13roll_f32_cudaPKfPflllliiii
		.amdhsa_group_segment_fixed_size 0
		.amdhsa_private_segment_fixed_size 0
		.amdhsa_kernarg_size 320
		.amdhsa_user_sgpr_count 6
		.amdhsa_user_sgpr_private_segment_buffer 1
		.amdhsa_user_sgpr_dispatch_ptr 0
		.amdhsa_user_sgpr_queue_ptr 0
		.amdhsa_user_sgpr_kernarg_segment_ptr 1
		.amdhsa_user_sgpr_dispatch_id 0
		.amdhsa_user_sgpr_flat_scratch_init 0
		.amdhsa_user_sgpr_private_segment_size 0
		.amdhsa_uses_dynamic_stack 0
		.amdhsa_system_sgpr_private_segment_wavefront_offset 0
		.amdhsa_system_sgpr_workgroup_id_x 1
		.amdhsa_system_sgpr_workgroup_id_y 0
		.amdhsa_system_sgpr_workgroup_id_z 0
		.amdhsa_system_sgpr_workgroup_info 0
		.amdhsa_system_vgpr_workitem_id 0
		.amdhsa_next_free_vgpr 20
		.amdhsa_next_free_sgpr 29
		.amdhsa_reserve_vcc 1
		.amdhsa_reserve_flat_scratch 0
		.amdhsa_float_round_mode_32 0
		.amdhsa_float_round_mode_16_64 0
		.amdhsa_float_denorm_mode_32 3
		.amdhsa_float_denorm_mode_16_64 3
		.amdhsa_dx10_clamp 1
		.amdhsa_ieee_mode 1
		.amdhsa_fp16_overflow 0
		.amdhsa_exception_fp_ieee_invalid_op 0
		.amdhsa_exception_fp_denorm_src 0
		.amdhsa_exception_fp_ieee_div_zero 0
		.amdhsa_exception_fp_ieee_overflow 0
		.amdhsa_exception_fp_ieee_underflow 0
		.amdhsa_exception_fp_ieee_inexact 0
		.amdhsa_exception_int_div_zero 0
	.end_amdhsa_kernel
	.section	.text._ZL13roll_f32_cudaPKfPflllliiii,"axG",@progbits,_ZL13roll_f32_cudaPKfPflllliiii,comdat
.Lfunc_end0:
	.size	_ZL13roll_f32_cudaPKfPflllliiii, .Lfunc_end0-_ZL13roll_f32_cudaPKfPflllliiii
                                        ; -- End function
	.set _ZL13roll_f32_cudaPKfPflllliiii.num_vgpr, 20
	.set _ZL13roll_f32_cudaPKfPflllliiii.num_agpr, 0
	.set _ZL13roll_f32_cudaPKfPflllliiii.numbered_sgpr, 29
	.set _ZL13roll_f32_cudaPKfPflllliiii.num_named_barrier, 0
	.set _ZL13roll_f32_cudaPKfPflllliiii.private_seg_size, 0
	.set _ZL13roll_f32_cudaPKfPflllliiii.uses_vcc, 1
	.set _ZL13roll_f32_cudaPKfPflllliiii.uses_flat_scratch, 0
	.set _ZL13roll_f32_cudaPKfPflllliiii.has_dyn_sized_stack, 0
	.set _ZL13roll_f32_cudaPKfPflllliiii.has_recursion, 0
	.set _ZL13roll_f32_cudaPKfPflllliiii.has_indirect_call, 0
	.section	.AMDGPU.csdata,"",@progbits
; Kernel info:
; codeLenInByte = 5268
; TotalNumSgprs: 33
; NumVgprs: 20
; ScratchSize: 0
; MemoryBound: 0
; FloatMode: 240
; IeeeMode: 1
; LDSByteSize: 0 bytes/workgroup (compile time only)
; SGPRBlocks: 4
; VGPRBlocks: 4
; NumSGPRsForWavesPerEU: 33
; NumVGPRsForWavesPerEU: 20
; Occupancy: 10
; WaveLimiterHint : 0
; COMPUTE_PGM_RSRC2:SCRATCH_EN: 0
; COMPUTE_PGM_RSRC2:USER_SGPR: 6
; COMPUTE_PGM_RSRC2:TRAP_HANDLER: 0
; COMPUTE_PGM_RSRC2:TGID_X_EN: 1
; COMPUTE_PGM_RSRC2:TGID_Y_EN: 0
; COMPUTE_PGM_RSRC2:TGID_Z_EN: 0
; COMPUTE_PGM_RSRC2:TIDIG_COMP_CNT: 0
	.section	.AMDGPU.gpr_maximums,"",@progbits
	.set amdgpu.max_num_vgpr, 0
	.set amdgpu.max_num_agpr, 0
	.set amdgpu.max_num_sgpr, 0
	.section	.AMDGPU.csdata,"",@progbits
	.type	__hip_cuid_e5455ae02de228f,@object ; @__hip_cuid_e5455ae02de228f
	.section	.bss,"aw",@nobits
	.globl	__hip_cuid_e5455ae02de228f
__hip_cuid_e5455ae02de228f:
	.byte	0                               ; 0x0
	.size	__hip_cuid_e5455ae02de228f, 1

	.ident	"AMD clang version 22.0.0git (https://github.com/RadeonOpenCompute/llvm-project roc-7.2.4 26084 f58b06dce1f9c15707c5f808fd002e18c2accf7e)"
	.section	".note.GNU-stack","",@progbits
	.addrsig
	.addrsig_sym __hip_cuid_e5455ae02de228f
	.amdgpu_metadata
---
amdhsa.kernels:
  - .args:
      - .actual_access:  read_only
        .address_space:  global
        .offset:         0
        .size:           8
        .value_kind:     global_buffer
      - .actual_access:  write_only
        .address_space:  global
        .offset:         8
        .size:           8
        .value_kind:     global_buffer
      - .offset:         16
        .size:           8
        .value_kind:     by_value
      - .offset:         24
        .size:           8
        .value_kind:     by_value
      - .offset:         32
        .size:           8
        .value_kind:     by_value
      - .offset:         40
        .size:           8
        .value_kind:     by_value
      - .offset:         48
        .size:           4
        .value_kind:     by_value
      - .offset:         52
        .size:           4
        .value_kind:     by_value
      - .offset:         56
        .size:           4
        .value_kind:     by_value
      - .offset:         60
        .size:           4
        .value_kind:     by_value
      - .offset:         64
        .size:           4
        .value_kind:     hidden_block_count_x
      - .offset:         68
        .size:           4
        .value_kind:     hidden_block_count_y
      - .offset:         72
        .size:           4
        .value_kind:     hidden_block_count_z
      - .offset:         76
        .size:           2
        .value_kind:     hidden_group_size_x
      - .offset:         78
        .size:           2
        .value_kind:     hidden_group_size_y
      - .offset:         80
        .size:           2
        .value_kind:     hidden_group_size_z
      - .offset:         82
        .size:           2
        .value_kind:     hidden_remainder_x
      - .offset:         84
        .size:           2
        .value_kind:     hidden_remainder_y
      - .offset:         86
        .size:           2
        .value_kind:     hidden_remainder_z
      - .offset:         104
        .size:           8
        .value_kind:     hidden_global_offset_x
      - .offset:         112
        .size:           8
        .value_kind:     hidden_global_offset_y
      - .offset:         120
        .size:           8
        .value_kind:     hidden_global_offset_z
      - .offset:         128
        .size:           2
        .value_kind:     hidden_grid_dims
    .group_segment_fixed_size: 0
    .kernarg_segment_align: 8
    .kernarg_segment_size: 320
    .language:       OpenCL C
    .language_version:
      - 2
      - 0
    .max_flat_workgroup_size: 1024
    .name:           _ZL13roll_f32_cudaPKfPflllliiii
    .private_segment_fixed_size: 0
    .sgpr_count:     33
    .sgpr_spill_count: 0
    .symbol:         _ZL13roll_f32_cudaPKfPflllliiii.kd
    .uniform_work_group_size: 1
    .uses_dynamic_stack: false
    .vgpr_count:     20
    .vgpr_spill_count: 0
    .wavefront_size: 64
amdhsa.target:   amdgcn-amd-amdhsa--gfx906
amdhsa.version:
  - 1
  - 2
...

	.end_amdgpu_metadata
